;; amdgpu-corpus repo=ROCm/rocFFT kind=compiled arch=gfx906 opt=O3
	.text
	.amdgcn_target "amdgcn-amd-amdhsa--gfx906"
	.amdhsa_code_object_version 6
	.protected	bluestein_single_back_len360_dim1_sp_op_CI_CI ; -- Begin function bluestein_single_back_len360_dim1_sp_op_CI_CI
	.globl	bluestein_single_back_len360_dim1_sp_op_CI_CI
	.p2align	8
	.type	bluestein_single_back_len360_dim1_sp_op_CI_CI,@function
bluestein_single_back_len360_dim1_sp_op_CI_CI: ; @bluestein_single_back_len360_dim1_sp_op_CI_CI
; %bb.0:
	s_load_dwordx4 s[0:3], s[4:5], 0x28
	v_mul_u32_u24_e32 v1, 0x445, v0
	v_lshrrev_b32_e32 v1, 16, v1
	v_lshl_add_u32 v36, s6, 2, v1
	v_mov_b32_e32 v37, 0
	s_waitcnt lgkmcnt(0)
	v_cmp_gt_u64_e32 vcc, s[0:1], v[36:37]
	s_and_saveexec_b64 s[0:1], vcc
	s_cbranch_execz .LBB0_15
; %bb.1:
	s_load_dwordx2 s[12:13], s[4:5], 0x0
	s_load_dwordx2 s[6:7], s[4:5], 0x38
	v_mul_lo_u16_e32 v2, 60, v1
	v_sub_u16_e32 v41, v0, v2
	v_and_b32_e32 v0, 3, v1
	v_mul_u32_u24_e32 v28, 0x168, v0
	v_cmp_gt_u16_e32 vcc, 36, v41
	v_lshlrev_b32_e32 v42, 3, v41
	v_lshlrev_b32_e32 v43, 3, v28
	s_and_saveexec_b64 s[14:15], vcc
	s_cbranch_execz .LBB0_3
; %bb.2:
	s_load_dwordx2 s[0:1], s[4:5], 0x18
	v_add_u32_e32 v48, v43, v42
	s_waitcnt lgkmcnt(0)
	s_load_dwordx4 s[8:11], s[0:1], 0x0
	s_waitcnt lgkmcnt(0)
	v_mad_u64_u32 v[0:1], s[0:1], s10, v36, 0
	v_mad_u64_u32 v[2:3], s[0:1], s8, v41, 0
	;; [unrolled: 1-line block ×4, first 2 shown]
	v_mov_b32_e32 v1, v4
	v_lshlrev_b64 v[0:1], 3, v[0:1]
	v_mov_b32_e32 v3, v5
	v_mov_b32_e32 v6, s3
	v_lshlrev_b64 v[2:3], 3, v[2:3]
	v_add_co_u32_e64 v0, s[0:1], s2, v0
	v_addc_co_u32_e64 v1, s[0:1], v6, v1, s[0:1]
	v_add_co_u32_e64 v0, s[0:1], v0, v2
	v_addc_co_u32_e64 v1, s[0:1], v1, v3, s[0:1]
	s_mul_i32 s0, s9, 0x120
	s_mul_hi_u32 s1, s8, 0x120
	s_mul_i32 s2, s8, 0x120
	s_add_i32 s0, s1, s0
	v_mov_b32_e32 v21, s0
	v_mov_b32_e32 v26, s0
	v_mov_b32_e32 v27, s0
	v_mov_b32_e32 v29, s0
	v_mov_b32_e32 v31, s0
	v_mov_b32_e32 v33, s0
	v_mov_b32_e32 v35, s0
	v_mov_b32_e32 v39, s0
	v_mov_b32_e32 v44, s0
	v_add_co_u32_e64 v20, s[0:1], s2, v0
	v_addc_co_u32_e64 v21, s[0:1], v1, v21, s[0:1]
	global_load_dwordx2 v[2:3], v42, s[12:13]
	global_load_dwordx2 v[4:5], v42, s[12:13] offset:288
	global_load_dwordx2 v[6:7], v42, s[12:13] offset:576
	;; [unrolled: 1-line block ×8, first 2 shown]
	global_load_dwordx2 v[22:23], v[0:1], off
	global_load_dwordx2 v[24:25], v[20:21], off
	v_add_co_u32_e64 v0, s[0:1], s2, v20
	v_addc_co_u32_e64 v1, s[0:1], v21, v26, s[0:1]
	global_load_dwordx2 v[20:21], v[0:1], off
	v_add_co_u32_e64 v0, s[0:1], s2, v0
	v_addc_co_u32_e64 v1, s[0:1], v1, v27, s[0:1]
	;; [unrolled: 3-line block ×8, first 2 shown]
	global_load_dwordx2 v[44:45], v42, s[12:13] offset:2592
	global_load_dwordx2 v[46:47], v[0:1], off
	v_lshl_add_u32 v35, v41, 3, v43
	s_waitcnt vmcnt(10)
	v_mul_f32_e32 v1, v22, v3
	v_mul_f32_e32 v0, v23, v3
	v_fma_f32 v1, v23, v2, -v1
	v_fmac_f32_e32 v0, v22, v2
	s_waitcnt vmcnt(9)
	v_mul_f32_e32 v3, v24, v5
	v_mul_f32_e32 v2, v25, v5
	ds_write_b64 v35, v[0:1]
	s_waitcnt vmcnt(8)
	v_mul_f32_e32 v0, v21, v7
	v_mul_f32_e32 v1, v20, v7
	v_fma_f32 v3, v25, v4, -v3
	v_fmac_f32_e32 v2, v24, v4
	v_fmac_f32_e32 v0, v20, v6
	v_fma_f32 v1, v21, v6, -v1
	ds_write2_b64 v48, v[2:3], v[0:1] offset0:36 offset1:72
	s_waitcnt vmcnt(7)
	v_mul_f32_e32 v0, v27, v9
	v_mul_f32_e32 v1, v26, v9
	s_waitcnt vmcnt(6)
	v_mul_f32_e32 v2, v30, v11
	v_mul_f32_e32 v3, v29, v11
	v_fmac_f32_e32 v0, v26, v8
	v_fma_f32 v1, v27, v8, -v1
	v_fmac_f32_e32 v2, v29, v10
	v_fma_f32 v3, v30, v10, -v3
	ds_write2_b64 v48, v[0:1], v[2:3] offset0:108 offset1:144
	s_waitcnt vmcnt(5)
	v_mul_f32_e32 v0, v32, v13
	v_mul_f32_e32 v1, v31, v13
	v_fmac_f32_e32 v0, v31, v12
	s_waitcnt vmcnt(4)
	v_mul_f32_e32 v2, v34, v15
	v_mul_f32_e32 v3, v33, v15
	v_fma_f32 v1, v32, v12, -v1
	v_fmac_f32_e32 v2, v33, v14
	v_fma_f32 v3, v34, v14, -v3
	ds_write2_b64 v48, v[0:1], v[2:3] offset0:180 offset1:216
	s_waitcnt vmcnt(3)
	v_mul_f32_e32 v0, v38, v17
	v_mul_f32_e32 v1, v37, v17
	v_fmac_f32_e32 v0, v37, v16
	v_fma_f32 v1, v38, v16, -v1
	s_waitcnt vmcnt(2)
	v_mul_f32_e32 v2, v40, v19
	v_mul_f32_e32 v3, v39, v19
	v_fmac_f32_e32 v2, v39, v18
	v_fma_f32 v3, v40, v18, -v3
	v_add_u32_e32 v4, 0x400, v48
	ds_write2_b64 v4, v[0:1], v[2:3] offset0:124 offset1:160
	s_waitcnt vmcnt(0)
	v_mul_f32_e32 v0, v47, v45
	v_mul_f32_e32 v1, v46, v45
	v_fmac_f32_e32 v0, v46, v44
	v_fma_f32 v1, v47, v44, -v1
	ds_write_b64 v48, v[0:1] offset:2592
.LBB0_3:
	s_or_b64 exec, exec, s[14:15]
	s_load_dwordx2 s[0:1], s[4:5], 0x20
	s_load_dwordx2 s[8:9], s[4:5], 0x8
	s_waitcnt lgkmcnt(0)
	s_barrier
	s_waitcnt lgkmcnt(0)
                                        ; implicit-def: $vgpr4
                                        ; implicit-def: $vgpr12
                                        ; implicit-def: $vgpr16
                                        ; implicit-def: $vgpr20
                                        ; implicit-def: $vgpr24
	s_and_saveexec_b64 s[2:3], vcc
	s_cbranch_execz .LBB0_5
; %bb.4:
	v_lshl_add_u32 v0, v28, 3, v42
	ds_read2_b64 v[4:7], v0 offset1:36
	ds_read2_b64 v[12:15], v0 offset0:72 offset1:108
	ds_read2_b64 v[16:19], v0 offset0:144 offset1:180
	;; [unrolled: 1-line block ×3, first 2 shown]
	v_add_u32_e32 v0, 0x800, v0
	ds_read2_b64 v[24:27], v0 offset0:32 offset1:68
.LBB0_5:
	s_or_b64 exec, exec, s[2:3]
	s_waitcnt lgkmcnt(1)
	v_add_f32_e32 v0, v16, v20
	v_fma_f32 v30, -0.5, v0, v4
	s_waitcnt lgkmcnt(0)
	v_sub_f32_e32 v0, v13, v25
	v_mov_b32_e32 v29, v30
	v_fmac_f32_e32 v29, 0x3f737871, v0
	v_sub_f32_e32 v1, v17, v21
	v_sub_f32_e32 v2, v12, v16
	;; [unrolled: 1-line block ×3, first 2 shown]
	v_fmac_f32_e32 v30, 0xbf737871, v0
	v_fmac_f32_e32 v29, 0x3f167918, v1
	v_add_f32_e32 v2, v2, v3
	v_fmac_f32_e32 v30, 0xbf167918, v1
	v_fmac_f32_e32 v29, 0x3e9e377a, v2
	;; [unrolled: 1-line block ×3, first 2 shown]
	v_add_f32_e32 v2, v12, v24
	v_fma_f32 v32, -0.5, v2, v4
	v_mov_b32_e32 v31, v32
	v_fmac_f32_e32 v31, 0xbf737871, v1
	v_fmac_f32_e32 v32, 0x3f737871, v1
	;; [unrolled: 1-line block ×4, first 2 shown]
	v_add_f32_e32 v0, v17, v21
	v_sub_f32_e32 v2, v16, v12
	v_sub_f32_e32 v3, v20, v24
	v_fma_f32 v34, -0.5, v0, v5
	v_add_f32_e32 v2, v2, v3
	v_sub_f32_e32 v0, v12, v24
	v_mov_b32_e32 v33, v34
	v_fmac_f32_e32 v31, 0x3e9e377a, v2
	v_fmac_f32_e32 v32, 0x3e9e377a, v2
	v_fmac_f32_e32 v33, 0xbf737871, v0
	v_sub_f32_e32 v1, v16, v20
	v_sub_f32_e32 v2, v13, v17
	;; [unrolled: 1-line block ×3, first 2 shown]
	v_fmac_f32_e32 v34, 0x3f737871, v0
	v_fmac_f32_e32 v33, 0xbf167918, v1
	v_add_f32_e32 v2, v2, v3
	v_fmac_f32_e32 v34, 0x3f167918, v1
	v_fmac_f32_e32 v33, 0x3e9e377a, v2
	;; [unrolled: 1-line block ×3, first 2 shown]
	v_add_f32_e32 v2, v13, v25
	v_fma_f32 v37, -0.5, v2, v5
	v_mov_b32_e32 v35, v37
	v_fmac_f32_e32 v35, 0x3f737871, v1
	v_fmac_f32_e32 v37, 0xbf737871, v1
	;; [unrolled: 1-line block ×3, first 2 shown]
	v_sub_f32_e32 v2, v17, v13
	v_sub_f32_e32 v3, v21, v25
	v_fmac_f32_e32 v37, 0x3f167918, v0
	v_add_f32_e32 v0, v18, v22
	v_add_f32_e32 v2, v2, v3
	v_fma_f32 v0, -0.5, v0, v6
	v_fmac_f32_e32 v35, 0x3e9e377a, v2
	v_fmac_f32_e32 v37, 0x3e9e377a, v2
	v_sub_f32_e32 v1, v15, v27
	v_mov_b32_e32 v2, v0
	v_fmac_f32_e32 v2, 0x3f737871, v1
	v_sub_f32_e32 v3, v19, v23
	v_sub_f32_e32 v8, v14, v18
	;; [unrolled: 1-line block ×3, first 2 shown]
	v_fmac_f32_e32 v0, 0xbf737871, v1
	v_fmac_f32_e32 v2, 0x3f167918, v3
	v_add_f32_e32 v8, v8, v9
	v_fmac_f32_e32 v0, 0xbf167918, v3
	v_fmac_f32_e32 v2, 0x3e9e377a, v8
	v_fmac_f32_e32 v0, 0x3e9e377a, v8
	v_add_f32_e32 v8, v14, v26
	v_fma_f32 v8, -0.5, v8, v6
	v_mov_b32_e32 v9, v8
	v_fmac_f32_e32 v9, 0xbf737871, v3
	v_fmac_f32_e32 v8, 0x3f737871, v3
	v_fmac_f32_e32 v9, 0x3f167918, v1
	v_sub_f32_e32 v10, v18, v14
	v_sub_f32_e32 v11, v22, v26
	v_fmac_f32_e32 v8, 0xbf167918, v1
	v_add_f32_e32 v1, v19, v23
	v_add_f32_e32 v10, v10, v11
	v_fma_f32 v1, -0.5, v1, v7
	v_fmac_f32_e32 v9, 0x3e9e377a, v10
	v_fmac_f32_e32 v8, 0x3e9e377a, v10
	v_sub_f32_e32 v3, v14, v26
	v_mov_b32_e32 v10, v1
	v_fmac_f32_e32 v10, 0xbf737871, v3
	v_sub_f32_e32 v11, v18, v22
	v_sub_f32_e32 v38, v15, v19
	;; [unrolled: 1-line block ×3, first 2 shown]
	v_fmac_f32_e32 v1, 0x3f737871, v3
	v_fmac_f32_e32 v10, 0xbf167918, v11
	v_add_f32_e32 v38, v38, v39
	v_fmac_f32_e32 v1, 0x3f167918, v11
	v_fmac_f32_e32 v10, 0x3e9e377a, v38
	;; [unrolled: 1-line block ×3, first 2 shown]
	v_add_f32_e32 v38, v15, v27
	v_fma_f32 v46, -0.5, v38, v7
	v_mov_b32_e32 v48, v46
	v_sub_f32_e32 v38, v19, v15
	v_sub_f32_e32 v39, v23, v27
	v_fmac_f32_e32 v46, 0xbf737871, v11
	v_fmac_f32_e32 v48, 0x3f737871, v11
	v_add_f32_e32 v38, v38, v39
	v_fmac_f32_e32 v46, 0x3f167918, v3
	s_mov_b32 s2, 0x3f737871
	v_fmac_f32_e32 v48, 0xbf167918, v3
	v_fmac_f32_e32 v46, 0x3e9e377a, v38
	v_mul_f32_e32 v3, 0x3e9e377a, v8
	s_mov_b32 s3, 0x3f167918
	v_fmac_f32_e32 v48, 0x3e9e377a, v38
	v_fma_f32 v40, v46, s2, -v3
	v_mul_f32_e32 v3, 0x3f4f1bbd, v0
	s_mov_b32 s4, 0xbf737871
	s_mov_b32 s5, 0xbf167918
	v_mul_f32_e32 v38, 0x3f4f1bbd, v2
	v_mul_f32_e32 v39, 0x3f737871, v48
	v_fma_f32 v44, v1, s3, -v3
	v_mul_f32_e32 v45, 0xbf167918, v2
	v_mul_f32_e32 v47, 0xbf737871, v9
	;; [unrolled: 1-line block ×4, first 2 shown]
	v_fmac_f32_e32 v38, 0x3f167918, v10
	v_fmac_f32_e32 v39, 0x3e9e377a, v9
	;; [unrolled: 1-line block ×4, first 2 shown]
	v_fma_f32 v48, v8, s4, -v2
	v_fma_f32 v49, v0, s5, -v1
	v_sub_f32_e32 v0, v29, v38
	v_sub_f32_e32 v2, v31, v39
	;; [unrolled: 1-line block ×8, first 2 shown]
	v_mul_lo_u16_e32 v46, 10, v41
	s_barrier
	s_and_saveexec_b64 s[2:3], vcc
	s_cbranch_execz .LBB0_7
; %bb.6:
	v_add_f32_e32 v5, v5, v13
	v_add_f32_e32 v4, v4, v12
	;; [unrolled: 1-line block ×16, first 2 shown]
	v_sub_f32_e32 v7, v17, v21
	v_sub_f32_e32 v6, v16, v20
	v_add_f32_e32 v19, v33, v45
	v_add_f32_e32 v17, v17, v21
	;; [unrolled: 1-line block ×4, first 2 shown]
	v_add_lshl_u32 v20, v28, v46, 3
	v_add_f32_e32 v5, v34, v49
	v_add_f32_e32 v15, v37, v48
	v_add_f32_e32 v13, v35, v47
	v_add_f32_e32 v4, v30, v44
	v_add_f32_e32 v14, v32, v40
	v_add_f32_e32 v12, v31, v39
	ds_write_b128 v20, v[16:19]
	ds_write_b128 v20, v[12:15] offset:16
	ds_write_b128 v20, v[4:7] offset:32
	;; [unrolled: 1-line block ×4, first 2 shown]
.LBB0_7:
	s_or_b64 exec, exec, s[2:3]
	s_movk_i32 s4, 0xcd
	v_mul_lo_u16_sdwa v4, v41, s4 dst_sel:DWORD dst_unused:UNUSED_PAD src0_sel:BYTE_0 src1_sel:DWORD
	v_lshrrev_b16_e32 v29, 11, v4
	v_mul_lo_u16_e32 v4, 10, v29
	v_sub_u16_e32 v4, v41, v4
	v_and_b32_e32 v30, 0xff, v4
	v_mad_u64_u32 v[16:17], s[4:5], v30, 40, s[8:9]
	s_load_dwordx4 s[0:3], s[0:1], 0x0
	s_waitcnt lgkmcnt(0)
	s_barrier
	global_load_dwordx4 v[12:15], v[16:17], off
	global_load_dwordx4 v[4:7], v[16:17], off offset:16
	global_load_dwordx2 v[37:38], v[16:17], off offset:32
	v_add_lshl_u32 v45, v28, v41, 3
	v_add_u32_e32 v32, 0x400, v45
	ds_read2_b64 v[16:19], v45 offset1:60
	ds_read2_b64 v[20:23], v45 offset0:120 offset1:180
	ds_read2_b64 v[24:27], v32 offset0:112 offset1:172
	v_mul_u32_u24_e32 v29, 60, v29
	v_add_u32_e32 v29, v29, v30
	v_add_lshl_u32 v47, v28, v29, 3
	s_waitcnt vmcnt(0) lgkmcnt(0)
	s_barrier
	v_mul_f32_e32 v28, v19, v13
	v_mul_f32_e32 v29, v18, v13
	;; [unrolled: 1-line block ×10, first 2 shown]
	v_fma_f32 v28, v18, v12, -v28
	v_fmac_f32_e32 v29, v19, v12
	v_fma_f32 v18, v20, v14, -v30
	v_fmac_f32_e32 v31, v21, v14
	;; [unrolled: 2-line block ×5, first 2 shown]
	v_add_f32_e32 v22, v16, v18
	v_add_f32_e32 v23, v18, v20
	v_sub_f32_e32 v24, v31, v39
	v_add_f32_e32 v25, v17, v31
	v_add_f32_e32 v26, v31, v39
	;; [unrolled: 1-line block ×3, first 2 shown]
	v_sub_f32_e32 v31, v34, v44
	v_add_f32_e32 v33, v29, v34
	v_add_f32_e32 v34, v34, v44
	v_sub_f32_e32 v27, v18, v20
	v_add_f32_e32 v18, v28, v19
	v_sub_f32_e32 v35, v19, v21
	v_add_f32_e32 v19, v22, v20
	v_fma_f32 v22, -0.5, v23, v16
	v_fmac_f32_e32 v28, -0.5, v30
	v_fmac_f32_e32 v29, -0.5, v34
	v_add_f32_e32 v20, v25, v39
	v_fma_f32 v23, -0.5, v26, v17
	v_add_f32_e32 v18, v18, v21
	v_add_f32_e32 v21, v33, v44
	v_mov_b32_e32 v26, v22
	v_mov_b32_e32 v25, v28
	v_fmac_f32_e32 v28, 0xbf5db3d7, v31
	v_mov_b32_e32 v33, v29
	v_fmac_f32_e32 v22, 0xbf5db3d7, v24
	;; [unrolled: 2-line block ×3, first 2 shown]
	v_fmac_f32_e32 v26, 0x3f5db3d7, v24
	v_fmac_f32_e32 v25, 0x3f5db3d7, v31
	v_fmac_f32_e32 v33, 0xbf5db3d7, v35
	v_mul_f32_e32 v24, -0.5, v28
	v_fmac_f32_e32 v23, 0x3f5db3d7, v27
	v_fmac_f32_e32 v30, 0xbf5db3d7, v27
	v_mul_f32_e32 v27, -0.5, v29
	v_mul_f32_e32 v31, 0x3f5db3d7, v33
	v_fmac_f32_e32 v24, 0x3f5db3d7, v29
	v_mul_f32_e32 v29, 0xbf5db3d7, v25
	v_fmac_f32_e32 v27, 0xbf5db3d7, v28
	v_fmac_f32_e32 v31, 0.5, v25
	v_fmac_f32_e32 v29, 0.5, v33
	v_add_f32_e32 v16, v19, v18
	v_add_f32_e32 v17, v20, v21
	v_sub_f32_e32 v18, v19, v18
	v_sub_f32_e32 v19, v20, v21
	v_add_f32_e32 v20, v22, v24
	v_add_f32_e32 v21, v23, v27
	v_sub_f32_e32 v22, v22, v24
	v_add_f32_e32 v24, v26, v31
	v_add_f32_e32 v25, v30, v29
	v_sub_f32_e32 v23, v23, v27
	v_sub_f32_e32 v26, v26, v31
	;; [unrolled: 1-line block ×3, first 2 shown]
	ds_write2_b64 v47, v[20:21], v[18:19] offset0:20 offset1:30
	ds_write2_b64 v47, v[16:17], v[24:25] offset1:10
	ds_write2_b64 v47, v[26:27], v[22:23] offset0:40 offset1:50
	v_mad_u64_u32 v[24:25], s[4:5], v41, 40, s[8:9]
	s_waitcnt lgkmcnt(0)
	s_barrier
	global_load_dwordx4 v[20:23], v[24:25], off offset:400
	global_load_dwordx4 v[16:19], v[24:25], off offset:416
	global_load_dwordx2 v[39:40], v[24:25], off offset:432
	ds_read2_b64 v[24:27], v45 offset1:60
	ds_read2_b64 v[28:31], v45 offset0:120 offset1:180
	ds_read2_b64 v[32:35], v32 offset0:112 offset1:172
	v_lshl_add_u32 v44, v41, 3, v43
	v_add_u32_e32 v48, 0x400, v44
	s_waitcnt vmcnt(2) lgkmcnt(2)
	v_mul_f32_e32 v50, v26, v21
	s_waitcnt lgkmcnt(1)
	v_mul_f32_e32 v51, v29, v23
	v_mul_f32_e32 v52, v28, v23
	s_waitcnt vmcnt(1)
	v_mul_f32_e32 v53, v31, v17
	v_mul_f32_e32 v54, v30, v17
	s_waitcnt lgkmcnt(0)
	v_mul_f32_e32 v56, v32, v19
	s_waitcnt vmcnt(0)
	v_mul_f32_e32 v57, v35, v40
	v_mul_f32_e32 v58, v34, v40
	;; [unrolled: 1-line block ×4, first 2 shown]
	v_fmac_f32_e32 v50, v27, v20
	v_fma_f32 v27, v28, v22, -v51
	v_fmac_f32_e32 v52, v29, v22
	v_fma_f32 v28, v30, v16, -v53
	v_fmac_f32_e32 v54, v31, v16
	v_fmac_f32_e32 v56, v33, v18
	v_fma_f32 v30, v34, v39, -v57
	v_fmac_f32_e32 v58, v35, v39
	v_fma_f32 v26, v26, v20, -v49
	v_fma_f32 v29, v32, v18, -v55
	v_sub_f32_e32 v33, v52, v56
	v_add_f32_e32 v34, v25, v52
	v_add_f32_e32 v35, v52, v56
	;; [unrolled: 1-line block ×3, first 2 shown]
	v_sub_f32_e32 v52, v54, v58
	v_add_f32_e32 v53, v50, v54
	v_add_f32_e32 v54, v54, v58
	;; [unrolled: 1-line block ×5, first 2 shown]
	v_fma_f32 v35, -0.5, v35, v25
	v_fmac_f32_e32 v26, -0.5, v51
	v_fmac_f32_e32 v50, -0.5, v54
	v_sub_f32_e32 v27, v27, v29
	v_sub_f32_e32 v28, v28, v30
	v_add_f32_e32 v29, v31, v29
	v_fma_f32 v32, -0.5, v32, v24
	v_add_f32_e32 v31, v34, v56
	v_add_f32_e32 v34, v53, v58
	v_mov_b32_e32 v51, v35
	v_mov_b32_e32 v53, v26
	v_fmac_f32_e32 v26, 0xbf5db3d7, v52
	v_mov_b32_e32 v54, v50
	v_add_f32_e32 v30, v49, v30
	v_mov_b32_e32 v49, v32
	v_fmac_f32_e32 v35, 0x3f5db3d7, v27
	v_fmac_f32_e32 v50, 0x3f5db3d7, v28
	;; [unrolled: 1-line block ×5, first 2 shown]
	v_mul_f32_e32 v27, -0.5, v26
	v_fmac_f32_e32 v32, 0xbf5db3d7, v33
	v_fmac_f32_e32 v49, 0x3f5db3d7, v33
	v_mul_f32_e32 v33, -0.5, v50
	v_mul_f32_e32 v52, 0x3f5db3d7, v54
	v_fmac_f32_e32 v27, 0x3f5db3d7, v50
	v_mul_f32_e32 v50, 0xbf5db3d7, v53
	v_fmac_f32_e32 v33, 0xbf5db3d7, v26
	v_fmac_f32_e32 v52, 0.5, v53
	v_fmac_f32_e32 v50, 0.5, v54
	v_add_f32_e32 v24, v29, v30
	v_add_f32_e32 v25, v31, v34
	v_sub_f32_e32 v30, v29, v30
	v_sub_f32_e32 v31, v31, v34
	v_add_f32_e32 v28, v32, v27
	v_add_f32_e32 v29, v35, v33
	v_sub_f32_e32 v34, v32, v27
	v_sub_f32_e32 v35, v35, v33
	;; [unrolled: 4-line block ×3, first 2 shown]
	ds_write2_b64 v44, v[28:29], v[30:31] offset0:120 offset1:180
	ds_write2_b64 v44, v[24:25], v[26:27] offset1:60
	ds_write2_b64 v48, v[32:33], v[34:35] offset0:112 offset1:172
	s_waitcnt lgkmcnt(0)
	s_barrier
	s_and_saveexec_b64 s[4:5], vcc
	s_cbranch_execz .LBB0_9
; %bb.8:
	global_load_dwordx2 v[52:53], v42, s[12:13] offset:2880
	ds_read2_b64 v[48:51], v44 offset1:36
	s_add_u32 s8, s12, 0xb40
	s_addc_u32 s9, s13, 0
	v_add_u32_e32 v56, 0x800, v44
	s_waitcnt vmcnt(0) lgkmcnt(0)
	v_mul_f32_e32 v54, v49, v53
	v_mul_f32_e32 v55, v48, v53
	v_fma_f32 v54, v48, v52, -v54
	v_fmac_f32_e32 v55, v49, v52
	global_load_dwordx2 v[48:49], v42, s[8:9] offset:288
	s_waitcnt vmcnt(0)
	v_mul_f32_e32 v52, v51, v49
	v_mul_f32_e32 v53, v50, v49
	v_fma_f32 v52, v50, v48, -v52
	v_fmac_f32_e32 v53, v51, v48
	ds_write2_b64 v44, v[54:55], v[52:53] offset1:36
	global_load_dwordx2 v[52:53], v42, s[8:9] offset:576
	ds_read2_b64 v[48:51], v44 offset0:72 offset1:108
	s_waitcnt vmcnt(0) lgkmcnt(0)
	v_mul_f32_e32 v54, v49, v53
	v_mul_f32_e32 v55, v48, v53
	v_fma_f32 v54, v48, v52, -v54
	v_fmac_f32_e32 v55, v49, v52
	global_load_dwordx2 v[48:49], v42, s[8:9] offset:864
	s_waitcnt vmcnt(0)
	v_mul_f32_e32 v52, v51, v49
	v_mul_f32_e32 v53, v50, v49
	v_fma_f32 v52, v50, v48, -v52
	v_fmac_f32_e32 v53, v51, v48
	ds_write2_b64 v44, v[54:55], v[52:53] offset0:72 offset1:108
	global_load_dwordx2 v[52:53], v42, s[8:9] offset:1152
	ds_read2_b64 v[48:51], v44 offset0:144 offset1:180
	s_waitcnt vmcnt(0) lgkmcnt(0)
	v_mul_f32_e32 v54, v49, v53
	v_mul_f32_e32 v55, v48, v53
	v_fma_f32 v54, v48, v52, -v54
	v_fmac_f32_e32 v55, v49, v52
	global_load_dwordx2 v[48:49], v42, s[8:9] offset:1440
	s_waitcnt vmcnt(0)
	v_mul_f32_e32 v52, v51, v49
	v_mul_f32_e32 v53, v50, v49
	v_fma_f32 v52, v50, v48, -v52
	v_fmac_f32_e32 v53, v51, v48
	ds_write2_b64 v44, v[54:55], v[52:53] offset0:144 offset1:180
	;; [unrolled: 14-line block ×4, first 2 shown]
.LBB0_9:
	s_or_b64 exec, exec, s[4:5]
	s_waitcnt lgkmcnt(0)
	s_barrier
	s_and_saveexec_b64 s[4:5], vcc
	s_cbranch_execz .LBB0_11
; %bb.10:
	ds_read2_b64 v[24:27], v44 offset1:36
	ds_read2_b64 v[28:31], v44 offset0:72 offset1:108
	ds_read2_b64 v[32:35], v44 offset0:144 offset1:180
	;; [unrolled: 1-line block ×3, first 2 shown]
	v_add_u32_e32 v8, 0x800, v44
	ds_read2_b64 v[8:11], v8 offset0:32 offset1:68
.LBB0_11:
	s_or_b64 exec, exec, s[4:5]
	s_waitcnt lgkmcnt(0)
	s_barrier
	s_and_saveexec_b64 s[4:5], vcc
	s_cbranch_execz .LBB0_13
; %bb.12:
	v_sub_f32_e32 v48, v29, v33
	v_sub_f32_e32 v49, v9, v1
	v_add_f32_e32 v48, v48, v49
	v_add_f32_e32 v49, v33, v1
	v_fma_f32 v56, -0.5, v49, v25
	v_sub_f32_e32 v49, v30, v34
	v_sub_f32_e32 v51, v10, v2
	v_add_f32_e32 v53, v49, v51
	v_add_f32_e32 v49, v34, v2
	v_fma_f32 v58, -0.5, v49, v26
	;; [unrolled: 5-line block ×6, first 2 shown]
	v_add_f32_e32 v27, v27, v31
	v_add_f32_e32 v27, v27, v35
	v_sub_f32_e32 v60, v35, v3
	v_add_f32_e32 v3, v27, v3
	v_sub_f32_e32 v54, v31, v11
	v_add_f32_e32 v31, v3, v11
	v_sub_f32_e32 v3, v28, v32
	v_sub_f32_e32 v11, v8, v0
	v_add_f32_e32 v25, v25, v29
	v_add_f32_e32 v3, v3, v11
	;; [unrolled: 1-line block ×3, first 2 shown]
	v_sub_f32_e32 v63, v30, v10
	v_mov_b32_e32 v64, v62
	v_sub_f32_e32 v65, v34, v2
	v_mov_b32_e32 v74, v73
	v_add_f32_e32 v25, v25, v33
	v_fma_f32 v35, -0.5, v11, v24
	v_sub_f32_e32 v11, v32, v28
	v_sub_f32_e32 v27, v0, v8
	v_fmac_f32_e32 v64, 0xbf737871, v63
	v_fmac_f32_e32 v74, 0x3f737871, v65
	;; [unrolled: 1-line block ×4, first 2 shown]
	v_add_f32_e32 v25, v25, v1
	v_add_f32_e32 v11, v11, v27
	;; [unrolled: 1-line block ×3, first 2 shown]
	v_fmac_f32_e32 v64, 0xbf167918, v65
	v_fmac_f32_e32 v74, 0xbf167918, v63
	;; [unrolled: 1-line block ×4, first 2 shown]
	v_add_f32_e32 v25, v25, v9
	v_sub_f32_e32 v9, v29, v9
	v_sub_f32_e32 v1, v33, v1
	v_fma_f32 v33, -0.5, v27, v24
	v_mov_b32_e32 v63, v35
	v_fmac_f32_e32 v64, 0x3e9e377a, v61
	v_fmac_f32_e32 v62, 0x3e9e377a, v61
	v_mov_b32_e32 v61, v33
	v_fmac_f32_e32 v63, 0x3f737871, v9
	v_fmac_f32_e32 v35, 0xbf737871, v9
	;; [unrolled: 1-line block ×6, first 2 shown]
	v_add_f32_e32 v1, v24, v28
	v_mov_b32_e32 v59, v58
	v_fmac_f32_e32 v58, 0xbf737871, v54
	v_add_f32_e32 v1, v1, v32
	v_sub_f32_e32 v52, v32, v0
	v_fmac_f32_e32 v58, 0xbf167918, v60
	v_add_f32_e32 v0, v1, v0
	v_sub_f32_e32 v50, v28, v8
	v_fmac_f32_e32 v59, 0x3f737871, v54
	v_mov_b32_e32 v71, v70
	v_fmac_f32_e32 v58, 0x3e9e377a, v53
	v_add_f32_e32 v24, v0, v8
	v_add_f32_e32 v0, v26, v30
	v_mov_b32_e32 v57, v56
	v_fmac_f32_e32 v59, 0x3f167918, v60
	v_mov_b32_e32 v68, v67
	v_fmac_f32_e32 v71, 0xbf737871, v60
	v_fmac_f32_e32 v70, 0x3f737871, v60
	;; [unrolled: 1-line block ×3, first 2 shown]
	v_mul_f32_e32 v60, 0x3f167918, v58
	v_add_f32_e32 v0, v0, v34
	v_fmac_f32_e32 v57, 0xbf737871, v50
	v_fmac_f32_e32 v59, 0x3e9e377a, v53
	v_mul_f32_e32 v66, 0xbf4f1bbd, v64
	v_fmac_f32_e32 v68, 0x3f737871, v52
	v_fmac_f32_e32 v71, 0x3f167918, v54
	;; [unrolled: 1-line block ×8, first 2 shown]
	v_mul_f32_e32 v29, 0xbf167918, v64
	v_mul_f32_e32 v62, 0xbf167918, v62
	v_add_f32_e32 v0, v0, v2
	v_fmac_f32_e32 v57, 0xbf167918, v52
	v_fmac_f32_e32 v66, 0x3f167918, v59
	;; [unrolled: 1-line block ×4, first 2 shown]
	v_mul_f32_e32 v75, 0xbe9e377a, v74
	v_fmac_f32_e32 v67, 0x3f167918, v50
	v_fmac_f32_e32 v70, 0x3e9e377a, v69
	v_mul_f32_e32 v69, 0x3e9e377a, v73
	v_fmac_f32_e32 v56, 0x3e9e377a, v48
	v_fmac_f32_e32 v29, 0xbf4f1bbd, v59
	;; [unrolled: 3-line block ×4, first 2 shown]
	v_add_f32_e32 v28, v0, v10
	v_fmac_f32_e32 v57, 0x3e9e377a, v48
	v_fmac_f32_e32 v68, 0x3e9e377a, v55
	;; [unrolled: 1-line block ×10, first 2 shown]
	v_sub_f32_e32 v3, v25, v31
	v_sub_f32_e32 v2, v24, v28
	v_add_f32_e32 v27, v56, v60
	v_add_f32_e32 v25, v25, v31
	;; [unrolled: 1-line block ×4, first 2 shown]
	v_lshl_add_u32 v28, v46, 3, v43
	v_sub_f32_e32 v51, v57, v66
	v_sub_f32_e32 v49, v68, v75
	;; [unrolled: 1-line block ×8, first 2 shown]
	v_add_f32_e32 v1, v57, v66
	v_add_f32_e32 v11, v68, v75
	v_add_f32_e32 v9, v67, v69
	v_add_f32_e32 v0, v63, v29
	v_add_f32_e32 v10, v61, v59
	v_add_f32_e32 v8, v33, v64
	ds_write_b128 v28, v[24:27]
	ds_write_b128 v28, v[8:11] offset:16
	ds_write_b128 v28, v[0:3] offset:32
	ds_write_b128 v28, v[52:55] offset:48
	ds_write_b128 v28, v[48:51] offset:64
.LBB0_13:
	s_or_b64 exec, exec, s[4:5]
	s_waitcnt lgkmcnt(0)
	s_barrier
	ds_read2_b64 v[0:3], v45 offset1:60
	ds_read2_b64 v[8:11], v45 offset0:120 offset1:180
	v_add_u32_e32 v28, 0x400, v45
	ds_read2_b64 v[24:27], v28 offset0:112 offset1:172
	s_waitcnt lgkmcnt(0)
	v_mul_f32_e32 v29, v13, v3
	v_fmac_f32_e32 v29, v12, v2
	v_mul_f32_e32 v2, v13, v2
	v_fma_f32 v12, v12, v3, -v2
	v_mul_f32_e32 v2, v15, v9
	v_fmac_f32_e32 v2, v14, v8
	v_mul_f32_e32 v3, v15, v8
	v_mul_f32_e32 v8, v5, v11
	;; [unrolled: 1-line block ×3, first 2 shown]
	v_fmac_f32_e32 v8, v4, v10
	v_fma_f32 v4, v4, v11, -v5
	v_mul_f32_e32 v5, v7, v25
	v_fmac_f32_e32 v5, v6, v24
	v_mul_f32_e32 v7, v7, v24
	v_add_f32_e32 v11, v2, v5
	v_fma_f32 v3, v14, v9, -v3
	v_fma_f32 v6, v6, v25, -v7
	v_fma_f32 v11, -0.5, v11, v0
	v_add_f32_e32 v10, v0, v2
	v_sub_f32_e32 v0, v3, v6
	v_mov_b32_e32 v13, v11
	v_fmac_f32_e32 v13, 0xbf5db3d7, v0
	v_fmac_f32_e32 v11, 0x3f5db3d7, v0
	v_add_f32_e32 v0, v1, v3
	v_add_f32_e32 v14, v0, v6
	;; [unrolled: 1-line block ×3, first 2 shown]
	v_fma_f32 v15, -0.5, v0, v1
	v_mul_f32_e32 v7, v38, v27
	v_sub_f32_e32 v0, v2, v5
	v_mov_b32_e32 v24, v15
	v_fmac_f32_e32 v7, v37, v26
	v_fmac_f32_e32 v24, 0x3f5db3d7, v0
	;; [unrolled: 1-line block ×3, first 2 shown]
	v_add_f32_e32 v0, v29, v8
	v_mul_f32_e32 v9, v38, v26
	v_add_f32_e32 v6, v0, v7
	v_add_f32_e32 v0, v8, v7
	v_fma_f32 v9, v37, v27, -v9
	v_fmac_f32_e32 v29, -0.5, v0
	v_sub_f32_e32 v0, v4, v9
	v_mov_b32_e32 v3, v29
	v_fmac_f32_e32 v3, 0xbf5db3d7, v0
	v_fmac_f32_e32 v29, 0x3f5db3d7, v0
	v_add_f32_e32 v0, v12, v4
	v_add_f32_e32 v25, v0, v9
	;; [unrolled: 1-line block ×3, first 2 shown]
	v_fmac_f32_e32 v12, -0.5, v0
	v_add_f32_e32 v10, v10, v5
	v_sub_f32_e32 v0, v8, v7
	v_mov_b32_e32 v5, v12
	v_fmac_f32_e32 v5, 0x3f5db3d7, v0
	v_fmac_f32_e32 v12, 0xbf5db3d7, v0
	v_mul_f32_e32 v7, 0xbf5db3d7, v5
	v_mul_f32_e32 v9, 0xbf5db3d7, v12
	v_mul_f32_e32 v26, 0.5, v5
	v_mul_f32_e32 v12, -0.5, v12
	v_fmac_f32_e32 v7, 0.5, v3
	v_fmac_f32_e32 v9, -0.5, v29
	v_fmac_f32_e32 v26, 0x3f5db3d7, v3
	v_fmac_f32_e32 v12, 0x3f5db3d7, v29
	v_add_f32_e32 v0, v10, v6
	v_add_f32_e32 v2, v13, v7
	;; [unrolled: 1-line block ×6, first 2 shown]
	v_sub_f32_e32 v6, v10, v6
	v_sub_f32_e32 v8, v13, v7
	;; [unrolled: 1-line block ×6, first 2 shown]
	s_barrier
	ds_write2_b64 v47, v[0:1], v[2:3] offset1:10
	ds_write2_b64 v47, v[4:5], v[6:7] offset0:20 offset1:30
	ds_write2_b64 v47, v[8:9], v[10:11] offset0:40 offset1:50
	s_waitcnt lgkmcnt(0)
	s_barrier
	ds_read2_b64 v[0:3], v45 offset1:60
	ds_read2_b64 v[4:7], v45 offset0:120 offset1:180
	ds_read2_b64 v[8:11], v28 offset0:112 offset1:172
	s_waitcnt lgkmcnt(2)
	v_mul_f32_e32 v12, v21, v3
	v_fmac_f32_e32 v12, v20, v2
	v_mul_f32_e32 v2, v21, v2
	v_fma_f32 v13, v20, v3, -v2
	s_waitcnt lgkmcnt(1)
	v_mul_f32_e32 v2, v23, v5
	v_mul_f32_e32 v3, v23, v4
	v_fmac_f32_e32 v2, v22, v4
	v_fma_f32 v3, v22, v5, -v3
	v_mul_f32_e32 v4, v17, v7
	v_mul_f32_e32 v5, v17, v6
	v_fmac_f32_e32 v4, v16, v6
	v_fma_f32 v5, v16, v7, -v5
	s_waitcnt lgkmcnt(0)
	v_mul_f32_e32 v6, v19, v9
	v_mul_f32_e32 v7, v19, v8
	v_fmac_f32_e32 v6, v18, v8
	v_fma_f32 v7, v18, v9, -v7
	v_mul_f32_e32 v9, v40, v10
	v_mul_f32_e32 v8, v40, v11
	v_fma_f32 v9, v39, v11, -v9
	v_add_f32_e32 v11, v2, v6
	v_fma_f32 v11, -0.5, v11, v0
	v_fmac_f32_e32 v8, v39, v10
	v_add_f32_e32 v10, v0, v2
	v_sub_f32_e32 v0, v3, v7
	v_mov_b32_e32 v14, v11
	v_fmac_f32_e32 v14, 0xbf5db3d7, v0
	v_fmac_f32_e32 v11, 0x3f5db3d7, v0
	v_add_f32_e32 v0, v1, v3
	v_add_f32_e32 v15, v0, v7
	;; [unrolled: 1-line block ×3, first 2 shown]
	v_fma_f32 v16, -0.5, v0, v1
	v_sub_f32_e32 v0, v2, v6
	v_mov_b32_e32 v17, v16
	v_fmac_f32_e32 v17, 0x3f5db3d7, v0
	v_fmac_f32_e32 v16, 0xbf5db3d7, v0
	v_add_f32_e32 v0, v12, v4
	v_add_f32_e32 v10, v10, v6
	;; [unrolled: 1-line block ×4, first 2 shown]
	v_fmac_f32_e32 v12, -0.5, v0
	v_sub_f32_e32 v0, v5, v9
	v_mov_b32_e32 v3, v12
	v_fmac_f32_e32 v3, 0xbf5db3d7, v0
	v_fmac_f32_e32 v12, 0x3f5db3d7, v0
	v_add_f32_e32 v0, v13, v5
	v_add_f32_e32 v7, v0, v9
	;; [unrolled: 1-line block ×3, first 2 shown]
	v_fmac_f32_e32 v13, -0.5, v0
	v_sub_f32_e32 v0, v4, v8
	v_mov_b32_e32 v5, v13
	v_fmac_f32_e32 v5, 0x3f5db3d7, v0
	v_fmac_f32_e32 v13, 0xbf5db3d7, v0
	v_mul_f32_e32 v8, 0xbf5db3d7, v5
	v_mul_f32_e32 v18, 0.5, v5
	v_fmac_f32_e32 v8, 0.5, v3
	v_mul_f32_e32 v9, 0xbf5db3d7, v13
	v_fmac_f32_e32 v18, 0x3f5db3d7, v3
	v_mul_f32_e32 v13, -0.5, v13
	v_add_f32_e32 v0, v10, v6
	v_add_f32_e32 v2, v14, v8
	v_fmac_f32_e32 v9, -0.5, v12
	v_add_f32_e32 v1, v15, v7
	v_add_f32_e32 v3, v17, v18
	v_fmac_f32_e32 v13, 0x3f5db3d7, v12
	v_add_f32_e32 v4, v11, v9
	v_add_f32_e32 v5, v16, v13
	v_sub_f32_e32 v6, v10, v6
	v_sub_f32_e32 v8, v14, v8
	;; [unrolled: 1-line block ×6, first 2 shown]
	ds_write2_b64 v44, v[0:1], v[2:3] offset1:60
	ds_write2_b64 v44, v[4:5], v[6:7] offset0:120 offset1:180
	v_add_u32_e32 v0, 0x400, v44
	ds_write2_b64 v0, v[8:9], v[10:11] offset0:112 offset1:172
	s_waitcnt lgkmcnt(0)
	s_barrier
	s_and_b64 exec, exec, vcc
	s_cbranch_execz .LBB0_15
; %bb.14:
	global_load_dwordx2 v[9:10], v42, s[12:13]
	global_load_dwordx2 v[11:12], v42, s[12:13] offset:288
	global_load_dwordx2 v[13:14], v42, s[12:13] offset:576
	;; [unrolled: 1-line block ×4, first 2 shown]
	ds_read2_b64 v[1:4], v44 offset0:36 offset1:72
	ds_read2_b64 v[5:8], v44 offset0:108 offset1:144
	global_load_dwordx2 v[23:24], v42, s[12:13] offset:1440
	global_load_dwordx2 v[25:26], v42, s[12:13] offset:1728
	;; [unrolled: 1-line block ×3, first 2 shown]
	v_mad_u64_u32 v[19:20], s[4:5], s2, v36, 0
	v_mad_u64_u32 v[21:22], s[8:9], s0, v41, 0
	ds_read_b64 v[29:30], v44
	ds_read_b64 v[31:32], v44 offset:2592
	global_load_dwordx2 v[33:34], v42, s[12:13] offset:2304
	global_load_dwordx2 v[37:38], v42, s[12:13] offset:2592
	v_mov_b32_e32 v43, s7
	s_mul_i32 s2, s1, 0x120
	s_mul_hi_u32 s7, s0, 0x120
	s_add_i32 s7, s7, s2
	v_mad_u64_u32 v[35:36], s[2:3], s3, v36, v[20:21]
	s_mulk_i32 s0, 0x120
	v_mov_b32_e32 v42, s7
	v_mov_b32_e32 v20, v35
	v_lshlrev_b64 v[19:20], 3, v[19:20]
	s_mov_b32 s4, 0x16c16c17
	v_add_co_u32_e32 v19, vcc, s6, v19
	v_addc_co_u32_e32 v20, vcc, v43, v20, vcc
	s_mov_b32 s5, 0x3f66c16c
	v_mov_b32_e32 v36, s7
	s_waitcnt vmcnt(6) lgkmcnt(2)
	v_mul_f32_e32 v43, v6, v16
	v_mul_f32_e32 v16, v5, v16
	s_waitcnt vmcnt(4)
	v_mad_u64_u32 v[39:40], s[2:3], s1, v41, v[22:23]
	v_mul_f32_e32 v41, v2, v12
	v_mul_f32_e32 v12, v1, v12
	v_mov_b32_e32 v22, v39
	v_lshlrev_b64 v[21:22], 3, v[21:22]
	s_waitcnt lgkmcnt(1)
	v_mul_f32_e32 v39, v30, v10
	v_add_co_u32_e32 v19, vcc, v19, v21
	v_addc_co_u32_e32 v20, vcc, v20, v22, vcc
	v_add_co_u32_e32 v21, vcc, s0, v19
	v_mul_f32_e32 v10, v29, v10
	v_addc_co_u32_e32 v22, vcc, v20, v42, vcc
	v_mul_f32_e32 v42, v4, v14
	v_mul_f32_e32 v14, v3, v14
	v_fmac_f32_e32 v39, v29, v9
	v_fma_f32 v9, v9, v30, -v10
	v_fmac_f32_e32 v41, v1, v11
	v_fma_f32 v10, v11, v2, -v12
	;; [unrolled: 2-line block ×3, first 2 shown]
	v_cvt_f64_f32_e32 v[1:2], v39
	v_cvt_f64_f32_e32 v[3:4], v9
	v_fmac_f32_e32 v43, v5, v15
	v_fma_f32 v29, v15, v6, -v16
	v_cvt_f64_f32_e32 v[5:6], v41
	v_cvt_f64_f32_e32 v[9:10], v10
	;; [unrolled: 1-line block ×4, first 2 shown]
	v_mul_f64 v[1:2], v[1:2], s[4:5]
	v_mul_f64 v[3:4], v[3:4], s[4:5]
	;; [unrolled: 1-line block ×6, first 2 shown]
	v_cvt_f64_f32_e32 v[15:16], v43
	v_cvt_f64_f32_e32 v[29:30], v29
	v_cvt_f32_f64_e32 v1, v[1:2]
	v_cvt_f32_f64_e32 v2, v[3:4]
	v_mul_f64 v[15:16], v[15:16], s[4:5]
	v_mul_f64 v[29:30], v[29:30], s[4:5]
	v_cvt_f32_f64_e32 v3, v[5:6]
	v_cvt_f32_f64_e32 v4, v[9:10]
	;; [unrolled: 1-line block ×4, first 2 shown]
	v_add_co_u32_e32 v35, vcc, s0, v21
	v_addc_co_u32_e32 v36, vcc, v22, v36, vcc
	global_store_dwordx2 v[19:20], v[1:2], off
	global_store_dwordx2 v[21:22], v[3:4], off
	;; [unrolled: 1-line block ×3, first 2 shown]
	v_mul_f32_e32 v1, v7, v18
	v_mul_f32_e32 v45, v8, v18
	v_fma_f32 v1, v17, v8, -v1
	v_fmac_f32_e32 v45, v7, v17
	v_cvt_f64_f32_e32 v[7:8], v1
	ds_read2_b64 v[1:4], v44 offset0:180 offset1:216
	v_cvt_f32_f64_e32 v9, v[15:16]
	v_cvt_f32_f64_e32 v10, v[29:30]
	v_cvt_f64_f32_e32 v[5:6], v45
	v_mov_b32_e32 v40, s7
	v_add_co_u32_e32 v11, vcc, s0, v35
	v_addc_co_u32_e32 v12, vcc, v36, v40, vcc
	global_store_dwordx2 v[11:12], v[9:10], off
	s_waitcnt lgkmcnt(0)
	v_mul_f32_e32 v9, v2, v24
	v_mul_f64 v[5:6], v[5:6], s[4:5]
	v_mul_f64 v[7:8], v[7:8], s[4:5]
	v_fmac_f32_e32 v9, v1, v23
	v_mul_f32_e32 v1, v1, v24
	v_fma_f32 v1, v23, v2, -v1
	v_cvt_f64_f32_e32 v[1:2], v1
	v_cvt_f64_f32_e32 v[9:10], v9
	v_mov_b32_e32 v13, s7
	v_cvt_f32_f64_e32 v5, v[5:6]
	v_mul_f64 v[1:2], v[1:2], s[4:5]
	v_cvt_f32_f64_e32 v6, v[7:8]
	v_mul_f64 v[7:8], v[9:10], s[4:5]
	v_mov_b32_e32 v10, s7
	v_add_co_u32_e32 v9, vcc, s0, v11
	v_addc_co_u32_e32 v10, vcc, v12, v10, vcc
	global_store_dwordx2 v[9:10], v[5:6], off
	v_cvt_f32_f64_e32 v6, v[1:2]
	s_waitcnt vmcnt(8)
	v_mul_f32_e32 v1, v4, v26
	v_fmac_f32_e32 v1, v3, v25
	v_cvt_f32_f64_e32 v5, v[7:8]
	v_cvt_f64_f32_e32 v[7:8], v1
	v_mul_f32_e32 v1, v3, v26
	v_fma_f32 v1, v25, v4, -v1
	v_cvt_f64_f32_e32 v[11:12], v1
	ds_read2_b64 v[0:3], v0 offset0:124 offset1:160
	v_add_co_u32_e32 v9, vcc, s0, v9
	v_addc_co_u32_e32 v10, vcc, v10, v13, vcc
	global_store_dwordx2 v[9:10], v[5:6], off
	v_mul_f64 v[4:5], v[7:8], s[4:5]
	s_waitcnt vmcnt(8) lgkmcnt(0)
	v_mul_f32_e32 v8, v1, v28
	v_fmac_f32_e32 v8, v0, v27
	v_mul_f32_e32 v0, v0, v28
	v_fma_f32 v0, v27, v1, -v0
	v_mul_f64 v[6:7], v[11:12], s[4:5]
	v_cvt_f64_f32_e32 v[0:1], v0
	v_cvt_f64_f32_e32 v[11:12], v8
	v_cvt_f32_f64_e32 v4, v[4:5]
	v_add_co_u32_e32 v8, vcc, s0, v9
	v_mul_f64 v[0:1], v[0:1], s[4:5]
	v_cvt_f32_f64_e32 v5, v[6:7]
	v_mul_f64 v[6:7], v[11:12], s[4:5]
	v_mov_b32_e32 v11, s7
	v_addc_co_u32_e32 v9, vcc, v10, v11, vcc
	global_store_dwordx2 v[8:9], v[4:5], off
	v_cvt_f32_f64_e32 v5, v[0:1]
	s_waitcnt vmcnt(8)
	v_mul_f32_e32 v0, v3, v34
	v_fmac_f32_e32 v0, v2, v33
	v_mul_f32_e32 v2, v2, v34
	v_fma_f32 v2, v33, v3, -v2
	v_cvt_f64_f32_e32 v[0:1], v0
	v_cvt_f64_f32_e32 v[2:3], v2
	v_cvt_f32_f64_e32 v4, v[6:7]
	v_mov_b32_e32 v7, s7
	v_add_co_u32_e32 v6, vcc, s0, v8
	v_mul_f64 v[0:1], v[0:1], s[4:5]
	v_mul_f64 v[2:3], v[2:3], s[4:5]
	v_addc_co_u32_e32 v7, vcc, v9, v7, vcc
	global_store_dwordx2 v[6:7], v[4:5], off
	s_waitcnt vmcnt(8)
	v_mul_f32_e32 v4, v32, v38
	v_mul_f32_e32 v8, v31, v38
	v_fmac_f32_e32 v4, v31, v37
	v_fma_f32 v8, v37, v32, -v8
	v_cvt_f64_f32_e32 v[4:5], v4
	v_cvt_f64_f32_e32 v[8:9], v8
	v_cvt_f32_f64_e32 v0, v[0:1]
	v_cvt_f32_f64_e32 v1, v[2:3]
	v_mul_f64 v[2:3], v[4:5], s[4:5]
	v_mul_f64 v[4:5], v[8:9], s[4:5]
	v_mov_b32_e32 v8, s7
	v_add_co_u32_e32 v6, vcc, s0, v6
	v_addc_co_u32_e32 v7, vcc, v7, v8, vcc
	global_store_dwordx2 v[6:7], v[0:1], off
	v_cvt_f32_f64_e32 v0, v[2:3]
	v_cvt_f32_f64_e32 v1, v[4:5]
	v_mov_b32_e32 v3, s7
	v_add_co_u32_e32 v2, vcc, s0, v6
	v_addc_co_u32_e32 v3, vcc, v7, v3, vcc
	global_store_dwordx2 v[2:3], v[0:1], off
.LBB0_15:
	s_endpgm
	.section	.rodata,"a",@progbits
	.p2align	6, 0x0
	.amdhsa_kernel bluestein_single_back_len360_dim1_sp_op_CI_CI
		.amdhsa_group_segment_fixed_size 11520
		.amdhsa_private_segment_fixed_size 0
		.amdhsa_kernarg_size 104
		.amdhsa_user_sgpr_count 6
		.amdhsa_user_sgpr_private_segment_buffer 1
		.amdhsa_user_sgpr_dispatch_ptr 0
		.amdhsa_user_sgpr_queue_ptr 0
		.amdhsa_user_sgpr_kernarg_segment_ptr 1
		.amdhsa_user_sgpr_dispatch_id 0
		.amdhsa_user_sgpr_flat_scratch_init 0
		.amdhsa_user_sgpr_private_segment_size 0
		.amdhsa_uses_dynamic_stack 0
		.amdhsa_system_sgpr_private_segment_wavefront_offset 0
		.amdhsa_system_sgpr_workgroup_id_x 1
		.amdhsa_system_sgpr_workgroup_id_y 0
		.amdhsa_system_sgpr_workgroup_id_z 0
		.amdhsa_system_sgpr_workgroup_info 0
		.amdhsa_system_vgpr_workitem_id 0
		.amdhsa_next_free_vgpr 76
		.amdhsa_next_free_sgpr 16
		.amdhsa_reserve_vcc 1
		.amdhsa_reserve_flat_scratch 0
		.amdhsa_float_round_mode_32 0
		.amdhsa_float_round_mode_16_64 0
		.amdhsa_float_denorm_mode_32 3
		.amdhsa_float_denorm_mode_16_64 3
		.amdhsa_dx10_clamp 1
		.amdhsa_ieee_mode 1
		.amdhsa_fp16_overflow 0
		.amdhsa_exception_fp_ieee_invalid_op 0
		.amdhsa_exception_fp_denorm_src 0
		.amdhsa_exception_fp_ieee_div_zero 0
		.amdhsa_exception_fp_ieee_overflow 0
		.amdhsa_exception_fp_ieee_underflow 0
		.amdhsa_exception_fp_ieee_inexact 0
		.amdhsa_exception_int_div_zero 0
	.end_amdhsa_kernel
	.text
.Lfunc_end0:
	.size	bluestein_single_back_len360_dim1_sp_op_CI_CI, .Lfunc_end0-bluestein_single_back_len360_dim1_sp_op_CI_CI
                                        ; -- End function
	.section	.AMDGPU.csdata,"",@progbits
; Kernel info:
; codeLenInByte = 6404
; NumSgprs: 20
; NumVgprs: 76
; ScratchSize: 0
; MemoryBound: 0
; FloatMode: 240
; IeeeMode: 1
; LDSByteSize: 11520 bytes/workgroup (compile time only)
; SGPRBlocks: 2
; VGPRBlocks: 18
; NumSGPRsForWavesPerEU: 20
; NumVGPRsForWavesPerEU: 76
; Occupancy: 3
; WaveLimiterHint : 1
; COMPUTE_PGM_RSRC2:SCRATCH_EN: 0
; COMPUTE_PGM_RSRC2:USER_SGPR: 6
; COMPUTE_PGM_RSRC2:TRAP_HANDLER: 0
; COMPUTE_PGM_RSRC2:TGID_X_EN: 1
; COMPUTE_PGM_RSRC2:TGID_Y_EN: 0
; COMPUTE_PGM_RSRC2:TGID_Z_EN: 0
; COMPUTE_PGM_RSRC2:TIDIG_COMP_CNT: 0
	.type	__hip_cuid_593374454dff184,@object ; @__hip_cuid_593374454dff184
	.section	.bss,"aw",@nobits
	.globl	__hip_cuid_593374454dff184
__hip_cuid_593374454dff184:
	.byte	0                               ; 0x0
	.size	__hip_cuid_593374454dff184, 1

	.ident	"AMD clang version 19.0.0git (https://github.com/RadeonOpenCompute/llvm-project roc-6.4.0 25133 c7fe45cf4b819c5991fe208aaa96edf142730f1d)"
	.section	".note.GNU-stack","",@progbits
	.addrsig
	.addrsig_sym __hip_cuid_593374454dff184
	.amdgpu_metadata
---
amdhsa.kernels:
  - .args:
      - .actual_access:  read_only
        .address_space:  global
        .offset:         0
        .size:           8
        .value_kind:     global_buffer
      - .actual_access:  read_only
        .address_space:  global
        .offset:         8
        .size:           8
        .value_kind:     global_buffer
      - .actual_access:  read_only
        .address_space:  global
        .offset:         16
        .size:           8
        .value_kind:     global_buffer
      - .actual_access:  read_only
        .address_space:  global
        .offset:         24
        .size:           8
        .value_kind:     global_buffer
      - .actual_access:  read_only
        .address_space:  global
        .offset:         32
        .size:           8
        .value_kind:     global_buffer
      - .offset:         40
        .size:           8
        .value_kind:     by_value
      - .address_space:  global
        .offset:         48
        .size:           8
        .value_kind:     global_buffer
      - .address_space:  global
        .offset:         56
        .size:           8
        .value_kind:     global_buffer
      - .address_space:  global
        .offset:         64
        .size:           8
        .value_kind:     global_buffer
      - .address_space:  global
        .offset:         72
        .size:           8
        .value_kind:     global_buffer
      - .offset:         80
        .size:           4
        .value_kind:     by_value
      - .address_space:  global
        .offset:         88
        .size:           8
        .value_kind:     global_buffer
      - .address_space:  global
        .offset:         96
        .size:           8
        .value_kind:     global_buffer
    .group_segment_fixed_size: 11520
    .kernarg_segment_align: 8
    .kernarg_segment_size: 104
    .language:       OpenCL C
    .language_version:
      - 2
      - 0
    .max_flat_workgroup_size: 240
    .name:           bluestein_single_back_len360_dim1_sp_op_CI_CI
    .private_segment_fixed_size: 0
    .sgpr_count:     20
    .sgpr_spill_count: 0
    .symbol:         bluestein_single_back_len360_dim1_sp_op_CI_CI.kd
    .uniform_work_group_size: 1
    .uses_dynamic_stack: false
    .vgpr_count:     76
    .vgpr_spill_count: 0
    .wavefront_size: 64
amdhsa.target:   amdgcn-amd-amdhsa--gfx906
amdhsa.version:
  - 1
  - 2
...

	.end_amdgpu_metadata
